;; amdgpu-corpus repo=ROCm/rocFFT kind=compiled arch=gfx1030 opt=O3
	.text
	.amdgcn_target "amdgcn-amd-amdhsa--gfx1030"
	.amdhsa_code_object_version 6
	.protected	fft_rtc_back_len1792_factors_4_4_4_4_7_wgs_224_tpt_224_halfLds_dp_ip_CI_unitstride_sbrr_dirReg ; -- Begin function fft_rtc_back_len1792_factors_4_4_4_4_7_wgs_224_tpt_224_halfLds_dp_ip_CI_unitstride_sbrr_dirReg
	.globl	fft_rtc_back_len1792_factors_4_4_4_4_7_wgs_224_tpt_224_halfLds_dp_ip_CI_unitstride_sbrr_dirReg
	.p2align	8
	.type	fft_rtc_back_len1792_factors_4_4_4_4_7_wgs_224_tpt_224_halfLds_dp_ip_CI_unitstride_sbrr_dirReg,@function
fft_rtc_back_len1792_factors_4_4_4_4_7_wgs_224_tpt_224_halfLds_dp_ip_CI_unitstride_sbrr_dirReg: ; @fft_rtc_back_len1792_factors_4_4_4_4_7_wgs_224_tpt_224_halfLds_dp_ip_CI_unitstride_sbrr_dirReg
; %bb.0:
	s_clause 0x2
	s_load_dwordx4 s[8:11], s[4:5], 0x0
	s_load_dwordx2 s[2:3], s[4:5], 0x50
	s_load_dwordx2 s[12:13], s[4:5], 0x18
	v_mul_u32_u24_e32 v1, 0x125, v0
	v_mov_b32_e32 v3, 0
	v_add_nc_u32_sdwa v5, s6, v1 dst_sel:DWORD dst_unused:UNUSED_PAD src0_sel:DWORD src1_sel:WORD_1
	v_mov_b32_e32 v1, 0
	v_mov_b32_e32 v6, v3
	v_mov_b32_e32 v2, 0
	s_waitcnt lgkmcnt(0)
	v_cmp_lt_u64_e64 s0, s[10:11], 2
	s_and_b32 vcc_lo, exec_lo, s0
	s_cbranch_vccnz .LBB0_8
; %bb.1:
	s_load_dwordx2 s[0:1], s[4:5], 0x10
	v_mov_b32_e32 v1, 0
	s_add_u32 s6, s12, 8
	v_mov_b32_e32 v2, 0
	s_addc_u32 s7, s13, 0
	s_mov_b64 s[16:17], 1
	s_waitcnt lgkmcnt(0)
	s_add_u32 s14, s0, 8
	s_addc_u32 s15, s1, 0
.LBB0_2:                                ; =>This Inner Loop Header: Depth=1
	s_load_dwordx2 s[18:19], s[14:15], 0x0
                                        ; implicit-def: $vgpr7_vgpr8
	s_mov_b32 s0, exec_lo
	s_waitcnt lgkmcnt(0)
	v_or_b32_e32 v4, s19, v6
	v_cmpx_ne_u64_e32 0, v[3:4]
	s_xor_b32 s1, exec_lo, s0
	s_cbranch_execz .LBB0_4
; %bb.3:                                ;   in Loop: Header=BB0_2 Depth=1
	v_cvt_f32_u32_e32 v4, s18
	v_cvt_f32_u32_e32 v7, s19
	s_sub_u32 s0, 0, s18
	s_subb_u32 s20, 0, s19
	v_fmac_f32_e32 v4, 0x4f800000, v7
	v_rcp_f32_e32 v4, v4
	v_mul_f32_e32 v4, 0x5f7ffffc, v4
	v_mul_f32_e32 v7, 0x2f800000, v4
	v_trunc_f32_e32 v7, v7
	v_fmac_f32_e32 v4, 0xcf800000, v7
	v_cvt_u32_f32_e32 v7, v7
	v_cvt_u32_f32_e32 v4, v4
	v_mul_lo_u32 v8, s0, v7
	v_mul_hi_u32 v9, s0, v4
	v_mul_lo_u32 v10, s20, v4
	v_add_nc_u32_e32 v8, v9, v8
	v_mul_lo_u32 v9, s0, v4
	v_add_nc_u32_e32 v8, v8, v10
	v_mul_hi_u32 v10, v4, v9
	v_mul_lo_u32 v11, v4, v8
	v_mul_hi_u32 v12, v4, v8
	v_mul_hi_u32 v13, v7, v9
	v_mul_lo_u32 v9, v7, v9
	v_mul_hi_u32 v14, v7, v8
	v_mul_lo_u32 v8, v7, v8
	v_add_co_u32 v10, vcc_lo, v10, v11
	v_add_co_ci_u32_e32 v11, vcc_lo, 0, v12, vcc_lo
	v_add_co_u32 v9, vcc_lo, v10, v9
	v_add_co_ci_u32_e32 v9, vcc_lo, v11, v13, vcc_lo
	v_add_co_ci_u32_e32 v10, vcc_lo, 0, v14, vcc_lo
	v_add_co_u32 v8, vcc_lo, v9, v8
	v_add_co_ci_u32_e32 v9, vcc_lo, 0, v10, vcc_lo
	v_add_co_u32 v4, vcc_lo, v4, v8
	v_add_co_ci_u32_e32 v7, vcc_lo, v7, v9, vcc_lo
	v_mul_hi_u32 v8, s0, v4
	v_mul_lo_u32 v10, s20, v4
	v_mul_lo_u32 v9, s0, v7
	v_add_nc_u32_e32 v8, v8, v9
	v_mul_lo_u32 v9, s0, v4
	v_add_nc_u32_e32 v8, v8, v10
	v_mul_hi_u32 v10, v4, v9
	v_mul_lo_u32 v11, v4, v8
	v_mul_hi_u32 v12, v4, v8
	v_mul_hi_u32 v13, v7, v9
	v_mul_lo_u32 v9, v7, v9
	v_mul_hi_u32 v14, v7, v8
	v_mul_lo_u32 v8, v7, v8
	v_add_co_u32 v10, vcc_lo, v10, v11
	v_add_co_ci_u32_e32 v11, vcc_lo, 0, v12, vcc_lo
	v_add_co_u32 v9, vcc_lo, v10, v9
	v_add_co_ci_u32_e32 v9, vcc_lo, v11, v13, vcc_lo
	v_add_co_ci_u32_e32 v10, vcc_lo, 0, v14, vcc_lo
	v_add_co_u32 v8, vcc_lo, v9, v8
	v_add_co_ci_u32_e32 v9, vcc_lo, 0, v10, vcc_lo
	v_add_co_u32 v4, vcc_lo, v4, v8
	v_add_co_ci_u32_e32 v11, vcc_lo, v7, v9, vcc_lo
	v_mul_hi_u32 v13, v5, v4
	v_mad_u64_u32 v[9:10], null, v6, v4, 0
	v_mad_u64_u32 v[7:8], null, v5, v11, 0
	;; [unrolled: 1-line block ×3, first 2 shown]
	v_add_co_u32 v4, vcc_lo, v13, v7
	v_add_co_ci_u32_e32 v7, vcc_lo, 0, v8, vcc_lo
	v_add_co_u32 v4, vcc_lo, v4, v9
	v_add_co_ci_u32_e32 v4, vcc_lo, v7, v10, vcc_lo
	v_add_co_ci_u32_e32 v7, vcc_lo, 0, v12, vcc_lo
	v_add_co_u32 v4, vcc_lo, v4, v11
	v_add_co_ci_u32_e32 v9, vcc_lo, 0, v7, vcc_lo
	v_mul_lo_u32 v10, s19, v4
	v_mad_u64_u32 v[7:8], null, s18, v4, 0
	v_mul_lo_u32 v11, s18, v9
	v_sub_co_u32 v7, vcc_lo, v5, v7
	v_add3_u32 v8, v8, v11, v10
	v_sub_nc_u32_e32 v10, v6, v8
	v_subrev_co_ci_u32_e64 v10, s0, s19, v10, vcc_lo
	v_add_co_u32 v11, s0, v4, 2
	v_add_co_ci_u32_e64 v12, s0, 0, v9, s0
	v_sub_co_u32 v13, s0, v7, s18
	v_sub_co_ci_u32_e32 v8, vcc_lo, v6, v8, vcc_lo
	v_subrev_co_ci_u32_e64 v10, s0, 0, v10, s0
	v_cmp_le_u32_e32 vcc_lo, s18, v13
	v_cmp_eq_u32_e64 s0, s19, v8
	v_cndmask_b32_e64 v13, 0, -1, vcc_lo
	v_cmp_le_u32_e32 vcc_lo, s19, v10
	v_cndmask_b32_e64 v14, 0, -1, vcc_lo
	v_cmp_le_u32_e32 vcc_lo, s18, v7
	;; [unrolled: 2-line block ×3, first 2 shown]
	v_cndmask_b32_e64 v15, 0, -1, vcc_lo
	v_cmp_eq_u32_e32 vcc_lo, s19, v10
	v_cndmask_b32_e64 v7, v15, v7, s0
	v_cndmask_b32_e32 v10, v14, v13, vcc_lo
	v_add_co_u32 v13, vcc_lo, v4, 1
	v_add_co_ci_u32_e32 v14, vcc_lo, 0, v9, vcc_lo
	v_cmp_ne_u32_e32 vcc_lo, 0, v10
	v_cndmask_b32_e32 v8, v14, v12, vcc_lo
	v_cndmask_b32_e32 v10, v13, v11, vcc_lo
	v_cmp_ne_u32_e32 vcc_lo, 0, v7
	v_cndmask_b32_e32 v8, v9, v8, vcc_lo
	v_cndmask_b32_e32 v7, v4, v10, vcc_lo
.LBB0_4:                                ;   in Loop: Header=BB0_2 Depth=1
	s_andn2_saveexec_b32 s0, s1
	s_cbranch_execz .LBB0_6
; %bb.5:                                ;   in Loop: Header=BB0_2 Depth=1
	v_cvt_f32_u32_e32 v4, s18
	s_sub_i32 s1, 0, s18
	v_rcp_iflag_f32_e32 v4, v4
	v_mul_f32_e32 v4, 0x4f7ffffe, v4
	v_cvt_u32_f32_e32 v4, v4
	v_mul_lo_u32 v7, s1, v4
	v_mul_hi_u32 v7, v4, v7
	v_add_nc_u32_e32 v4, v4, v7
	v_mul_hi_u32 v4, v5, v4
	v_mul_lo_u32 v7, v4, s18
	v_add_nc_u32_e32 v8, 1, v4
	v_sub_nc_u32_e32 v7, v5, v7
	v_subrev_nc_u32_e32 v9, s18, v7
	v_cmp_le_u32_e32 vcc_lo, s18, v7
	v_cndmask_b32_e32 v7, v7, v9, vcc_lo
	v_cndmask_b32_e32 v4, v4, v8, vcc_lo
	v_cmp_le_u32_e32 vcc_lo, s18, v7
	v_add_nc_u32_e32 v8, 1, v4
	v_cndmask_b32_e32 v7, v4, v8, vcc_lo
	v_mov_b32_e32 v8, v3
.LBB0_6:                                ;   in Loop: Header=BB0_2 Depth=1
	s_or_b32 exec_lo, exec_lo, s0
	s_load_dwordx2 s[0:1], s[6:7], 0x0
	v_mul_lo_u32 v4, v8, s18
	v_mul_lo_u32 v11, v7, s19
	v_mad_u64_u32 v[9:10], null, v7, s18, 0
	s_add_u32 s16, s16, 1
	s_addc_u32 s17, s17, 0
	s_add_u32 s6, s6, 8
	s_addc_u32 s7, s7, 0
	;; [unrolled: 2-line block ×3, first 2 shown]
	v_add3_u32 v4, v10, v11, v4
	v_sub_co_u32 v5, vcc_lo, v5, v9
	v_sub_co_ci_u32_e32 v4, vcc_lo, v6, v4, vcc_lo
	s_waitcnt lgkmcnt(0)
	v_mul_lo_u32 v6, s1, v5
	v_mul_lo_u32 v4, s0, v4
	v_mad_u64_u32 v[1:2], null, s0, v5, v[1:2]
	v_cmp_ge_u64_e64 s0, s[16:17], s[10:11]
	s_and_b32 vcc_lo, exec_lo, s0
	v_add3_u32 v2, v6, v2, v4
	s_cbranch_vccnz .LBB0_9
; %bb.7:                                ;   in Loop: Header=BB0_2 Depth=1
	v_mov_b32_e32 v5, v7
	v_mov_b32_e32 v6, v8
	s_branch .LBB0_2
.LBB0_8:
	v_mov_b32_e32 v8, v6
	v_mov_b32_e32 v7, v5
.LBB0_9:
	s_lshl_b64 s[0:1], s[10:11], 3
	v_mul_hi_u32 v5, 0x124924a, v0
	s_add_u32 s0, s12, s0
	s_addc_u32 s1, s13, s1
                                        ; implicit-def: $vgpr14_vgpr15
                                        ; implicit-def: $vgpr10_vgpr11
                                        ; implicit-def: $vgpr22_vgpr23
                                        ; implicit-def: $vgpr30_vgpr31
                                        ; implicit-def: $vgpr18_vgpr19
                                        ; implicit-def: $vgpr26_vgpr27
	s_load_dwordx2 s[0:1], s[0:1], 0x0
	s_load_dwordx2 s[4:5], s[4:5], 0x20
	s_waitcnt lgkmcnt(0)
	v_mul_lo_u32 v3, s0, v8
	v_mul_lo_u32 v4, s1, v7
	v_mad_u64_u32 v[1:2], null, s0, v7, v[1:2]
	v_cmp_gt_u64_e32 vcc_lo, s[4:5], v[7:8]
                                        ; implicit-def: $vgpr6_vgpr7
	v_add3_u32 v2, v4, v2, v3
	v_mul_u32_u24_e32 v3, 0xe0, v5
	v_lshlrev_b64 v[50:51], 4, v[1:2]
	v_sub_nc_u32_e32 v48, v0, v3
                                        ; implicit-def: $vgpr2_vgpr3
	s_and_saveexec_b32 s1, vcc_lo
	s_cbranch_execz .LBB0_11
; %bb.10:
	v_mov_b32_e32 v49, 0
	v_add_co_u32 v2, s0, s2, v50
	v_add_co_ci_u32_e64 v3, s0, s3, v51, s0
	v_lshlrev_b64 v[0:1], 4, v[48:49]
	v_add_co_u32 v8, s0, v2, v0
	v_add_co_ci_u32_e64 v9, s0, v3, v1, s0
	v_add_co_u32 v0, s0, 0x1800, v8
	v_add_co_ci_u32_e64 v1, s0, 0, v9, s0
	v_add_co_u32 v10, s0, 0x3800, v8
	v_add_co_ci_u32_e64 v11, s0, 0, v9, s0
	v_add_co_u32 v16, s0, 0x5000, v8
	v_add_co_ci_u32_e64 v17, s0, 0, v9, s0
	v_add_co_u32 v18, s0, 0x800, v8
	v_add_co_ci_u32_e64 v19, s0, 0, v9, s0
	v_add_co_u32 v20, s0, 0x2800, v8
	v_add_co_ci_u32_e64 v21, s0, 0, v9, s0
	v_add_co_u32 v22, s0, 0x4000, v8
	v_add_co_ci_u32_e64 v23, s0, 0, v9, s0
	v_add_co_u32 v28, s0, 0x6000, v8
	v_add_co_ci_u32_e64 v29, s0, 0, v9, s0
	s_clause 0x7
	global_load_dwordx4 v[4:7], v[8:9], off
	global_load_dwordx4 v[0:3], v[0:1], off offset:1024
	global_load_dwordx4 v[12:15], v[10:11], off
	global_load_dwordx4 v[24:27], v[16:17], off offset:1024
	global_load_dwordx4 v[16:19], v[18:19], off offset:1536
	;; [unrolled: 1-line block ×5, first 2 shown]
.LBB0_11:
	s_or_b32 exec_lo, exec_lo, s1
	s_waitcnt vmcnt(5)
	v_add_f64 v[32:33], v[4:5], -v[12:13]
	s_waitcnt vmcnt(4)
	v_add_f64 v[24:25], v[0:1], -v[24:25]
	;; [unrolled: 2-line block ×4, first 2 shown]
	v_add_f64 v[36:37], v[6:7], -v[14:15]
	v_add_f64 v[12:13], v[2:3], -v[26:27]
	v_add_f64 v[38:39], v[18:19], -v[22:23]
	v_add_f64 v[14:15], v[10:11], -v[30:31]
	v_and_b32_e32 v47, 3, v48
	v_add_nc_u32_e32 v64, 0xe0, v48
	v_lshlrev_b32_e32 v49, 2, v48
	v_and_b32_e32 v69, 15, v48
	v_and_b32_e32 v74, 63, v48
	v_cmp_gt_u32_e64 s0, 32, v48
	v_lshlrev_b32_e32 v73, 2, v64
	v_and_b32_e32 v75, 63, v64
	v_fma_f64 v[29:30], v[4:5], 2.0, -v[32:33]
	v_fma_f64 v[0:1], v[0:1], 2.0, -v[24:25]
	;; [unrolled: 1-line block ×8, first 2 shown]
	v_add_f64 v[7:8], v[12:13], v[32:33]
	v_add_f64 v[11:12], v[14:15], v[34:35]
	v_add_f64 v[19:20], v[38:39], -v[20:21]
	v_add_f64 v[5:6], v[29:30], -v[0:1]
	v_lshl_add_u32 v0, v48, 5, 0
	v_add_f64 v[9:10], v[40:41], -v[16:17]
	v_add_f64 v[15:16], v[36:37], -v[24:25]
	;; [unrolled: 1-line block ×4, first 2 shown]
	v_fma_f64 v[23:24], v[32:33], 2.0, -v[7:8]
	v_fma_f64 v[27:28], v[34:35], 2.0, -v[11:12]
	v_mad_i32_i24 v1, 0xffffffe8, v48, v0
	v_add_nc_u32_e32 v4, 0xe00, v1
	v_add_nc_u32_e32 v2, 0x1c00, v1
	;; [unrolled: 1-line block ×3, first 2 shown]
	v_fma_f64 v[21:22], v[29:30], 2.0, -v[5:6]
	v_fma_f64 v[25:26], v[40:41], 2.0, -v[9:10]
	;; [unrolled: 1-line block ×6, first 2 shown]
	v_mul_u32_u24_e32 v40, 3, v47
	v_lshl_add_u32 v37, v64, 5, 0
	ds_write_b128 v0, v[5:8] offset:16
	ds_write_b128 v37, v[9:12] offset:16
	ds_write_b128 v0, v[21:24]
	ds_write_b128 v37, v[25:28]
	v_lshlrev_b32_e32 v38, 4, v40
	s_waitcnt lgkmcnt(0)
	s_barrier
	buffer_gl0_inv
	ds_read2_b64 v[5:8], v1 offset1:224
	ds_read2_b64 v[9:12], v4 offset1:224
	ds_read2_b64 v[21:24], v2 offset1:224
	ds_read2_b64 v[25:28], v3 offset1:224
	s_waitcnt lgkmcnt(0)
	s_barrier
	buffer_gl0_inv
	ds_write_b128 v0, v[29:32]
	ds_write_b128 v0, v[13:16] offset:16
	ds_write_b128 v37, v[33:36]
	ds_write_b128 v37, v[17:20] offset:16
	s_waitcnt lgkmcnt(0)
	s_barrier
	buffer_gl0_inv
	s_clause 0x2
	global_load_dwordx4 v[13:16], v38, s[8:9]
	global_load_dwordx4 v[17:20], v38, s[8:9] offset:16
	global_load_dwordx4 v[29:32], v38, s[8:9] offset:32
	ds_read2_b64 v[33:36], v4 offset1:224
	ds_read2_b64 v[37:40], v2 offset1:224
	;; [unrolled: 1-line block ×3, first 2 shown]
	s_waitcnt vmcnt(2) lgkmcnt(2)
	v_mul_f64 v[45:46], v[33:34], v[15:16]
	v_mul_f64 v[52:53], v[35:36], v[15:16]
	;; [unrolled: 1-line block ×4, first 2 shown]
	s_waitcnt vmcnt(1)
	v_mul_f64 v[65:66], v[21:22], v[19:20]
	s_waitcnt vmcnt(0)
	v_mul_f64 v[67:68], v[25:26], v[31:32]
	s_waitcnt lgkmcnt(1)
	v_mul_f64 v[54:55], v[37:38], v[19:20]
	s_waitcnt lgkmcnt(0)
	v_mul_f64 v[56:57], v[41:42], v[31:32]
	v_mul_f64 v[58:59], v[39:40], v[19:20]
	;; [unrolled: 1-line block ×5, first 2 shown]
	v_fma_f64 v[45:46], v[9:10], v[13:14], v[45:46]
	v_fma_f64 v[52:53], v[11:12], v[13:14], v[52:53]
	v_fma_f64 v[33:34], v[33:34], v[13:14], -v[62:63]
	v_fma_f64 v[13:14], v[35:36], v[13:14], -v[15:16]
	;; [unrolled: 1-line block ×4, first 2 shown]
	v_fma_f64 v[21:22], v[21:22], v[17:18], v[54:55]
	v_fma_f64 v[25:26], v[25:26], v[29:30], v[56:57]
	;; [unrolled: 1-line block ×4, first 2 shown]
	ds_read2_b64 v[9:12], v1 offset1:224
	v_fma_f64 v[17:18], v[39:40], v[17:18], -v[19:20]
	v_fma_f64 v[19:20], v[43:44], v[29:30], -v[31:32]
	s_waitcnt lgkmcnt(0)
	s_barrier
	buffer_gl0_inv
	v_add_f64 v[29:30], v[33:34], -v[35:36]
	v_add_f64 v[21:22], v[5:6], -v[21:22]
	v_add_f64 v[25:26], v[45:46], -v[25:26]
	v_add_f64 v[15:16], v[9:10], -v[15:16]
	v_add_f64 v[23:24], v[7:8], -v[23:24]
	v_add_f64 v[27:28], v[52:53], -v[27:28]
	v_add_f64 v[17:18], v[11:12], -v[17:18]
	v_add_f64 v[19:20], v[13:14], -v[19:20]
	v_fma_f64 v[33:34], v[33:34], 2.0, -v[29:30]
	v_fma_f64 v[5:6], v[5:6], 2.0, -v[21:22]
	v_fma_f64 v[31:32], v[45:46], 2.0, -v[25:26]
	v_fma_f64 v[9:10], v[9:10], 2.0, -v[15:16]
	v_fma_f64 v[7:8], v[7:8], 2.0, -v[23:24]
	v_fma_f64 v[35:36], v[52:53], 2.0, -v[27:28]
	v_fma_f64 v[11:12], v[11:12], 2.0, -v[17:18]
	v_fma_f64 v[13:14], v[13:14], 2.0, -v[19:20]
	v_add_f64 v[29:30], v[21:22], v[29:30]
	v_add_f64 v[19:20], v[23:24], v[19:20]
	v_add_f64 v[25:26], v[15:16], -v[25:26]
	v_add_f64 v[27:28], v[17:18], -v[27:28]
	v_mul_u32_u24_e32 v45, 3, v69
	v_lshlrev_b32_e32 v45, 4, v45
	v_add_f64 v[31:32], v[5:6], -v[31:32]
	v_add_f64 v[33:34], v[9:10], -v[33:34]
	;; [unrolled: 1-line block ×4, first 2 shown]
	v_fma_f64 v[13:14], v[21:22], 2.0, -v[29:30]
	v_fma_f64 v[21:22], v[23:24], 2.0, -v[19:20]
	v_and_or_b32 v23, 0x3f0, v49, v47
	v_fma_f64 v[41:42], v[17:18], 2.0, -v[27:28]
	v_and_or_b32 v47, 0x7f0, v73, v47
	v_lshl_add_u32 v46, v23, 3, 0
	v_fma_f64 v[23:24], v[15:16], 2.0, -v[25:26]
	v_lshl_add_u32 v47, v47, 3, 0
	v_fma_f64 v[5:6], v[5:6], 2.0, -v[31:32]
	v_fma_f64 v[39:40], v[9:10], 2.0, -v[33:34]
	;; [unrolled: 1-line block ×3, first 2 shown]
	ds_write2_b64 v46, v[31:32], v[29:30] offset0:8 offset1:12
	ds_write2_b64 v46, v[5:6], v[13:14] offset1:4
	ds_write2_b64 v47, v[7:8], v[21:22] offset1:4
	ds_write2_b64 v47, v[35:36], v[19:20] offset0:8 offset1:12
	v_fma_f64 v[43:44], v[11:12], 2.0, -v[37:38]
	s_waitcnt lgkmcnt(0)
	s_barrier
	buffer_gl0_inv
	ds_read2_b64 v[5:8], v1 offset1:224
	ds_read2_b64 v[9:12], v4 offset1:224
	;; [unrolled: 1-line block ×4, first 2 shown]
	s_waitcnt lgkmcnt(0)
	s_barrier
	buffer_gl0_inv
	ds_write2_b64 v46, v[39:40], v[23:24] offset1:4
	ds_write2_b64 v46, v[33:34], v[25:26] offset0:8 offset1:12
	ds_write2_b64 v47, v[43:44], v[41:42] offset1:4
	ds_write2_b64 v47, v[37:38], v[27:28] offset0:8 offset1:12
	s_waitcnt lgkmcnt(0)
	s_barrier
	buffer_gl0_inv
	s_clause 0x2
	global_load_dwordx4 v[21:24], v45, s[8:9] offset:192
	global_load_dwordx4 v[25:28], v45, s[8:9] offset:208
	global_load_dwordx4 v[29:32], v45, s[8:9] offset:224
	ds_read2_b64 v[33:36], v4 offset1:224
	ds_read2_b64 v[37:40], v2 offset1:224
	ds_read2_b64 v[41:44], v3 offset1:224
	s_waitcnt vmcnt(2) lgkmcnt(2)
	v_mul_f64 v[45:46], v[33:34], v[23:24]
	v_mul_f64 v[52:53], v[35:36], v[23:24]
	;; [unrolled: 1-line block ×4, first 2 shown]
	s_waitcnt vmcnt(1)
	v_mul_f64 v[65:66], v[13:14], v[27:28]
	s_waitcnt vmcnt(0)
	v_mul_f64 v[67:68], v[17:18], v[31:32]
	s_waitcnt lgkmcnt(1)
	v_mul_f64 v[54:55], v[37:38], v[27:28]
	s_waitcnt lgkmcnt(0)
	v_mul_f64 v[56:57], v[41:42], v[31:32]
	v_mul_f64 v[58:59], v[39:40], v[27:28]
	;; [unrolled: 1-line block ×5, first 2 shown]
	v_fma_f64 v[45:46], v[9:10], v[21:22], v[45:46]
	v_fma_f64 v[52:53], v[11:12], v[21:22], v[52:53]
	v_fma_f64 v[33:34], v[33:34], v[21:22], -v[62:63]
	v_fma_f64 v[21:22], v[35:36], v[21:22], -v[23:24]
	v_fma_f64 v[23:24], v[37:38], v[25:26], -v[65:66]
	v_fma_f64 v[35:36], v[41:42], v[29:30], -v[67:68]
	v_fma_f64 v[13:14], v[13:14], v[25:26], v[54:55]
	v_fma_f64 v[17:18], v[17:18], v[29:30], v[56:57]
	;; [unrolled: 1-line block ×4, first 2 shown]
	ds_read2_b64 v[9:12], v1 offset1:224
	v_fma_f64 v[25:26], v[39:40], v[25:26], -v[27:28]
	v_fma_f64 v[27:28], v[43:44], v[29:30], -v[31:32]
	s_waitcnt lgkmcnt(0)
	s_barrier
	buffer_gl0_inv
	v_add_f64 v[29:30], v[33:34], -v[35:36]
	v_add_f64 v[13:14], v[5:6], -v[13:14]
	;; [unrolled: 1-line block ×8, first 2 shown]
	v_fma_f64 v[33:34], v[33:34], 2.0, -v[29:30]
	v_fma_f64 v[5:6], v[5:6], 2.0, -v[13:14]
	;; [unrolled: 1-line block ×8, first 2 shown]
	v_add_f64 v[17:18], v[23:24], -v[17:18]
	v_add_f64 v[29:30], v[13:14], v[29:30]
	v_add_f64 v[27:28], v[15:16], v[27:28]
	v_add_f64 v[19:20], v[25:26], -v[19:20]
	v_add_f64 v[31:32], v[5:6], -v[31:32]
	;; [unrolled: 1-line block ×3, first 2 shown]
	v_mul_u32_u24_e32 v34, 3, v74
	v_add_f64 v[35:36], v[7:8], -v[35:36]
	v_and_or_b32 v33, 0x3c0, v49, v69
	v_add_f64 v[21:22], v[11:12], -v[21:22]
	v_fma_f64 v[39:40], v[23:24], 2.0, -v[17:18]
	v_fma_f64 v[13:14], v[13:14], 2.0, -v[29:30]
	;; [unrolled: 1-line block ×4, first 2 shown]
	v_lshlrev_b32_e32 v46, 4, v34
	v_mul_u32_u24_e32 v34, 3, v75
	v_lshl_add_u32 v45, v33, 3, 0
	v_and_or_b32 v33, 0x7c0, v73, v69
	v_lshlrev_b32_e32 v47, 4, v34
	v_fma_f64 v[5:6], v[5:6], 2.0, -v[31:32]
	v_fma_f64 v[9:10], v[9:10], 2.0, -v[37:38]
	;; [unrolled: 1-line block ×4, first 2 shown]
	v_lshl_add_u32 v11, v33, 3, 0
	ds_write2_b64 v45, v[31:32], v[29:30] offset0:32 offset1:48
	ds_write2_b64 v45, v[5:6], v[13:14] offset1:16
	ds_write2_b64 v11, v[7:8], v[15:16] offset1:16
	ds_write2_b64 v11, v[35:36], v[27:28] offset0:32 offset1:48
	s_waitcnt lgkmcnt(0)
	s_barrier
	buffer_gl0_inv
	ds_read2_b64 v[5:8], v1 offset1:224
	ds_read2_b64 v[24:27], v4 offset1:224
	;; [unrolled: 1-line block ×4, first 2 shown]
	s_waitcnt lgkmcnt(0)
	s_barrier
	buffer_gl0_inv
	ds_write2_b64 v45, v[9:10], v[39:40] offset1:16
	ds_write2_b64 v45, v[37:38], v[17:18] offset0:32 offset1:48
	ds_write2_b64 v11, v[43:44], v[41:42] offset1:16
	ds_write2_b64 v11, v[21:22], v[19:20] offset0:32 offset1:48
	s_waitcnt lgkmcnt(0)
	s_barrier
	buffer_gl0_inv
	s_clause 0x5
	global_load_dwordx4 v[36:39], v46, s[8:9] offset:960
	global_load_dwordx4 v[40:43], v47, s[8:9] offset:960
	;; [unrolled: 1-line block ×6, first 2 shown]
	ds_read2_b64 v[60:63], v4 offset1:224
	ds_read2_b64 v[28:31], v2 offset1:224
	;; [unrolled: 1-line block ×3, first 2 shown]
	s_waitcnt vmcnt(5) lgkmcnt(2)
	v_mul_f64 v[2:3], v[60:61], v[38:39]
	s_waitcnt vmcnt(4)
	v_mul_f64 v[9:10], v[62:63], v[42:43]
	s_waitcnt vmcnt(3) lgkmcnt(1)
	v_mul_f64 v[44:45], v[28:29], v[18:19]
	s_waitcnt vmcnt(2) lgkmcnt(0)
	v_mul_f64 v[46:47], v[65:66], v[54:55]
	s_waitcnt vmcnt(1)
	v_mul_f64 v[69:70], v[30:31], v[22:23]
	s_waitcnt vmcnt(0)
	v_mul_f64 v[71:72], v[67:68], v[58:59]
	v_mul_f64 v[38:39], v[24:25], v[38:39]
	;; [unrolled: 1-line block ×5, first 2 shown]
	v_fma_f64 v[2:3], v[24:25], v[36:37], v[2:3]
	v_fma_f64 v[9:10], v[26:27], v[40:41], v[9:10]
	;; [unrolled: 1-line block ×6, first 2 shown]
	v_fma_f64 v[46:47], v[60:61], v[36:37], -v[38:39]
	v_fma_f64 v[44:45], v[62:63], v[40:41], -v[42:43]
	v_fma_f64 v[36:37], v[65:66], v[52:53], -v[54:55]
	v_fma_f64 v[38:39], v[67:68], v[56:57], -v[58:59]
	ds_read2_b64 v[40:43], v1 offset1:224
	s_waitcnt lgkmcnt(0)
	s_barrier
	buffer_gl0_inv
	v_lshl_add_u32 v65, v48, 3, 0
	v_add_f64 v[24:25], v[5:6], -v[24:25]
	v_add_f64 v[54:55], v[2:3], -v[26:27]
	;; [unrolled: 1-line block ×4, first 2 shown]
	v_and_or_b32 v32, 0x300, v49, v74
	v_and_or_b32 v33, 0x700, v73, v75
	v_add_f64 v[62:63], v[46:47], -v[36:37]
	v_add_f64 v[60:61], v[44:45], -v[38:39]
	v_lshl_add_u32 v67, v32, 3, 0
	v_lshl_add_u32 v66, v33, 3, 0
	v_fma_f64 v[4:5], v[5:6], 2.0, -v[24:25]
	v_fma_f64 v[2:3], v[2:3], 2.0, -v[54:55]
	;; [unrolled: 1-line block ×4, first 2 shown]
	v_add_f64 v[10:11], v[24:25], v[62:63]
	v_add_f64 v[52:53], v[26:27], v[60:61]
	v_add_f64 v[2:3], v[4:5], -v[2:3]
	v_add_f64 v[8:9], v[6:7], -v[8:9]
	v_fma_f64 v[24:25], v[24:25], 2.0, -v[10:11]
	v_fma_f64 v[26:27], v[26:27], 2.0, -v[52:53]
	v_fma_f64 v[4:5], v[4:5], 2.0, -v[2:3]
	v_fma_f64 v[6:7], v[6:7], 2.0, -v[8:9]
	ds_write2st64_b64 v67, v[2:3], v[10:11] offset0:2 offset1:3
	ds_write2st64_b64 v67, v[4:5], v[24:25] offset1:1
	ds_write2st64_b64 v66, v[6:7], v[26:27] offset1:1
	ds_write2st64_b64 v66, v[8:9], v[52:53] offset0:2 offset1:3
	s_waitcnt lgkmcnt(0)
	s_barrier
	buffer_gl0_inv
	ds_read2st64_b64 v[24:27], v1 offset1:4
	ds_read2st64_b64 v[32:35], v1 offset0:8 offset1:12
	ds_read2st64_b64 v[36:39], v1 offset0:16 offset1:20
	ds_read_b64 v[56:57], v1 offset:12288
	v_mul_i32_i24_e32 v1, 0xffffffe8, v48
                                        ; implicit-def: $vgpr6_vgpr7
                                        ; implicit-def: $vgpr2_vgpr3
                                        ; implicit-def: $vgpr10_vgpr11
	v_add_nc_u32_e32 v49, v0, v1
	s_and_saveexec_b32 s1, s0
	s_cbranch_execz .LBB0_13
; %bb.12:
	v_add_nc_u32_e32 v4, 0x100, v65
	ds_read_b64 v[52:53], v49 offset:1792
	ds_read2st64_b64 v[8:11], v4 offset0:7 offset1:11
	ds_read2st64_b64 v[0:3], v4 offset0:15 offset1:19
	;; [unrolled: 1-line block ×3, first 2 shown]
.LBB0_13:
	s_or_b32 exec_lo, exec_lo, s1
	v_mul_f64 v[12:13], v[12:13], v[18:19]
	v_mul_f64 v[14:15], v[14:15], v[22:23]
	v_fma_f64 v[18:19], v[44:45], 2.0, -v[60:61]
	s_waitcnt lgkmcnt(0)
	s_barrier
	buffer_gl0_inv
	v_fma_f64 v[12:13], v[28:29], v[16:17], -v[12:13]
	v_fma_f64 v[14:15], v[30:31], v[20:21], -v[14:15]
	v_fma_f64 v[16:17], v[46:47], 2.0, -v[62:63]
	v_add_f64 v[12:13], v[40:41], -v[12:13]
	v_add_f64 v[14:15], v[42:43], -v[14:15]
	v_fma_f64 v[20:21], v[40:41], 2.0, -v[12:13]
	v_fma_f64 v[22:23], v[42:43], 2.0, -v[14:15]
	v_add_f64 v[28:29], v[12:13], -v[54:55]
	v_add_f64 v[54:55], v[14:15], -v[58:59]
	;; [unrolled: 1-line block ×4, first 2 shown]
	v_fma_f64 v[12:13], v[12:13], 2.0, -v[28:29]
	v_fma_f64 v[14:15], v[14:15], 2.0, -v[54:55]
	;; [unrolled: 1-line block ×4, first 2 shown]
	ds_write2st64_b64 v67, v[16:17], v[28:29] offset0:2 offset1:3
	ds_write2st64_b64 v67, v[20:21], v[12:13] offset1:1
	ds_write2st64_b64 v66, v[22:23], v[14:15] offset1:1
	ds_write2st64_b64 v66, v[18:19], v[54:55] offset0:2 offset1:3
	s_waitcnt lgkmcnt(0)
	s_barrier
	buffer_gl0_inv
	ds_read2st64_b64 v[28:31], v49 offset1:4
	ds_read2st64_b64 v[40:43], v49 offset0:8 offset1:12
	ds_read2st64_b64 v[44:47], v49 offset0:16 offset1:20
	ds_read_b64 v[58:59], v49 offset:12288
                                        ; implicit-def: $vgpr18_vgpr19
                                        ; implicit-def: $vgpr14_vgpr15
                                        ; implicit-def: $vgpr22_vgpr23
	s_and_saveexec_b32 s1, s0
	s_cbranch_execz .LBB0_15
; %bb.14:
	v_add_nc_u32_e32 v16, 0x100, v65
	ds_read_b64 v[54:55], v49 offset:1792
	ds_read2st64_b64 v[20:23], v16 offset0:7 offset1:11
	ds_read2st64_b64 v[12:15], v16 offset0:15 offset1:19
	;; [unrolled: 1-line block ×3, first 2 shown]
.LBB0_15:
	s_or_b32 exec_lo, exec_lo, s1
	s_and_saveexec_b32 s1, vcc_lo
	s_cbranch_execz .LBB0_18
; %bb.16:
	v_mul_u32_u24_e32 v49, 6, v48
	s_mov_b32 s16, 0xe976ee23
	s_mov_b32 s22, 0x37e14327
	;; [unrolled: 1-line block ×4, first 2 shown]
	v_lshlrev_b32_e32 v49, 4, v49
	s_mov_b32 s23, 0x3fe948f6
	s_mov_b32 s19, 0xbfebfeb5
	s_mov_b32 s14, 0x36b3c0b5
	s_mov_b32 s15, 0x3fac98ee
	v_add_co_u32 v49, s1, s8, v49
	v_add_co_ci_u32_e64 v60, null, s9, 0, s1
	s_mov_b32 s10, 0xb247c609
	v_add_co_u32 v81, vcc_lo, 0xfc0, v49
	v_add_co_u32 v73, s1, 0x1000, v49
	v_add_co_ci_u32_e32 v82, vcc_lo, 0, v60, vcc_lo
	v_add_co_ci_u32_e64 v74, vcc_lo, 0, v60, s1
	v_add_co_u32 v69, vcc_lo, 0x800, v49
	v_add_co_ci_u32_e32 v70, vcc_lo, 0, v60, vcc_lo
	s_clause 0x5
	global_load_dwordx4 v[60:63], v[81:82], off offset:16
	global_load_dwordx4 v[65:68], v[73:74], off
	global_load_dwordx4 v[69:72], v[69:70], off offset:1984
	global_load_dwordx4 v[73:76], v[73:74], off offset:16
	;; [unrolled: 1-line block ×4, first 2 shown]
	s_mov_b32 s12, 0xaaaaaaaa
	s_mov_b32 s11, 0xbfd5d0dc
	s_mov_b32 s13, 0xbff2aaaa
	s_mov_b32 s21, 0x3fd5d0dc
	s_mov_b32 s24, 0x5476071b
	s_mov_b32 s20, s10
	s_mov_b32 s25, 0xbfe77f67
	s_mov_b32 s27, 0x3fe77f67
	s_mov_b32 s26, s24
	v_mov_b32_e32 v49, 0
	s_mov_b32 s6, 0x37c3f68c
	s_mov_b32 s7, 0xbfdc38aa
	s_waitcnt vmcnt(5)
	v_mul_f64 v[85:86], v[32:33], v[60:61]
	s_waitcnt vmcnt(4)
	v_mul_f64 v[87:88], v[38:39], v[65:66]
	v_mul_f64 v[32:33], v[32:33], v[62:63]
	v_mul_f64 v[38:39], v[38:39], v[67:68]
	s_waitcnt vmcnt(3)
	v_mul_f64 v[89:90], v[26:27], v[71:72]
	s_waitcnt vmcnt(2)
	v_mul_f64 v[91:92], v[56:57], v[75:76]
	v_mul_f64 v[26:27], v[26:27], v[69:70]
	v_mul_f64 v[56:57], v[56:57], v[73:74]
	s_waitcnt vmcnt(1)
	v_mul_f64 v[93:94], v[36:37], v[77:78]
	s_waitcnt vmcnt(0)
	v_mul_f64 v[95:96], v[34:35], v[81:82]
	v_mul_f64 v[34:35], v[34:35], v[83:84]
	v_mul_f64 v[36:37], v[36:37], v[79:80]
	s_waitcnt lgkmcnt(2)
	v_fma_f64 v[62:63], v[40:41], v[62:63], v[85:86]
	s_waitcnt lgkmcnt(1)
	v_fma_f64 v[67:68], v[46:47], v[67:68], v[87:88]
	v_fma_f64 v[32:33], v[40:41], v[60:61], -v[32:33]
	v_fma_f64 v[38:39], v[46:47], v[65:66], -v[38:39]
	;; [unrolled: 1-line block ×3, first 2 shown]
	s_waitcnt lgkmcnt(0)
	v_fma_f64 v[46:47], v[58:59], v[73:74], -v[91:92]
	v_fma_f64 v[26:27], v[30:31], v[71:72], v[26:27]
	v_fma_f64 v[30:31], v[58:59], v[75:76], v[56:57]
	;; [unrolled: 1-line block ×4, first 2 shown]
	v_fma_f64 v[34:35], v[42:43], v[81:82], -v[34:35]
	v_fma_f64 v[36:37], v[44:45], v[77:78], -v[36:37]
	v_or_b32_e32 v81, 0x200, v48
	v_or_b32_e32 v86, 0x400, v48
	v_mov_b32_e32 v82, v49
	v_mov_b32_e32 v87, v49
	v_or_b32_e32 v83, 0x300, v48
	v_or_b32_e32 v88, 0x600, v48
	v_lshlrev_b64 v[91:92], 4, v[48:49]
	v_add_f64 v[60:61], v[62:63], v[67:68]
	v_add_f64 v[62:63], v[62:63], -v[67:68]
	v_add_f64 v[42:43], v[32:33], v[38:39]
	v_add_f64 v[32:33], v[32:33], -v[38:39]
	;; [unrolled: 2-line block ×4, first 2 shown]
	v_add_f64 v[69:70], v[56:57], -v[58:59]
	v_add_f64 v[30:31], v[56:57], v[58:59]
	v_add_f64 v[26:27], v[36:37], v[34:35]
	v_add_f64 v[34:35], v[36:37], -v[34:35]
	v_add_f64 v[36:37], v[42:43], v[44:45]
	v_add_f64 v[77:78], v[32:33], -v[40:41]
	;; [unrolled: 2-line block ×3, first 2 shown]
	v_add_f64 v[46:47], v[69:70], -v[62:63]
	v_add_f64 v[58:59], v[65:66], -v[30:31]
	;; [unrolled: 1-line block ×6, first 2 shown]
	v_add_f64 v[62:63], v[69:70], v[62:63]
	v_add_f64 v[69:70], v[67:68], -v[69:70]
	v_add_f64 v[32:33], v[34:35], v[32:33]
	v_add_f64 v[34:35], v[40:41], -v[34:35]
	v_add_f64 v[60:61], v[60:61], -v[65:66]
	v_add_f64 v[36:37], v[26:27], v[36:37]
	v_mul_f64 v[89:90], v[77:78], s[18:19]
	v_add_f64 v[38:39], v[30:31], v[38:39]
	v_mul_f64 v[84:85], v[73:74], s[18:19]
	v_mul_f64 v[46:47], v[46:47], s[16:17]
	;; [unrolled: 1-line block ×5, first 2 shown]
	v_add_co_u32 v26, vcc_lo, s2, v50
	v_mul_f64 v[65:66], v[79:80], s[14:15]
	v_add_f64 v[62:63], v[62:63], v[67:68]
	v_add_f64 v[32:33], v[32:33], v[40:41]
	v_or_b32_e32 v50, 0x100, v48
	v_add_co_ci_u32_e32 v27, vcc_lo, s3, v51, vcc_lo
	v_mov_b32_e32 v51, v49
	v_lshlrev_b64 v[50:51], 4, v[50:51]
	v_add_f64 v[30:31], v[28:29], v[36:37]
	v_add_f64 v[28:29], v[24:25], v[38:39]
	v_add_f64 v[24:25], v[42:43], -v[44:45]
	v_mul_f64 v[42:43], v[75:76], s[14:15]
	v_fma_f64 v[40:41], v[69:70], s[10:11], v[46:47]
	v_fma_f64 v[67:68], v[75:76], s[14:15], v[56:57]
	;; [unrolled: 1-line block ×4, first 2 shown]
	v_fma_f64 v[69:70], v[69:70], s[20:21], -v[84:85]
	v_fma_f64 v[46:47], v[73:74], s[18:19], -v[46:47]
	;; [unrolled: 1-line block ×5, first 2 shown]
	v_mov_b32_e32 v84, v49
	v_mov_b32_e32 v89, v49
	v_lshlrev_b64 v[65:66], 4, v[81:82]
	v_lshlrev_b64 v[73:74], 4, v[86:87]
	v_or_b32_e32 v44, 0x500, v48
	v_mov_b32_e32 v45, v49
	v_fma_f64 v[36:37], v[36:37], s[12:13], v[30:31]
	v_add_co_u32 v65, s1, v26, v65
	v_fma_f64 v[38:39], v[38:39], s[12:13], v[28:29]
	v_fma_f64 v[56:57], v[24:25], s[24:25], -v[56:57]
	v_fma_f64 v[24:25], v[24:25], s[26:27], -v[42:43]
	;; [unrolled: 1-line block ×3, first 2 shown]
	v_fma_f64 v[40:41], v[62:63], s[6:7], v[40:41]
	v_fma_f64 v[77:78], v[32:33], s[6:7], v[79:80]
	;; [unrolled: 1-line block ×5, first 2 shown]
	v_lshlrev_b64 v[71:72], 4, v[83:84]
	v_lshlrev_b64 v[79:80], 4, v[88:89]
	v_add_co_u32 v73, s3, v26, v73
	v_add_co_u32 v71, s2, v26, v71
	v_add_f64 v[62:63], v[67:68], v[36:37]
	v_add_f64 v[67:68], v[75:76], v[38:39]
	;; [unrolled: 1-line block ×5, first 2 shown]
	v_fma_f64 v[83:84], v[32:33], s[6:7], v[42:43]
	v_add_f64 v[87:88], v[60:61], v[38:39]
	v_lshlrev_b64 v[75:76], 4, v[44:45]
	v_add_co_u32 v24, vcc_lo, v26, v91
	v_add_co_ci_u32_e32 v25, vcc_lo, v27, v92, vcc_lo
	v_add_co_u32 v50, vcc_lo, v26, v50
	v_add_co_ci_u32_e32 v51, vcc_lo, v27, v51, vcc_lo
	v_add_co_ci_u32_e64 v66, vcc_lo, v27, v66, s1
	v_add_co_ci_u32_e64 v72, vcc_lo, v27, v72, s2
	v_add_f64 v[34:35], v[40:41], v[62:63]
	v_add_f64 v[62:63], v[62:63], -v[40:41]
	v_add_co_ci_u32_e64 v74, vcc_lo, v27, v74, s3
	v_add_f64 v[60:61], v[77:78], v[67:68]
	v_add_f64 v[38:39], v[69:70], v[56:57]
	v_add_f64 v[58:59], v[56:57], -v[69:70]
	v_add_f64 v[56:57], v[81:82], v[85:86]
	v_add_f64 v[42:43], v[36:37], -v[46:47]
	;; [unrolled: 2-line block ×4, first 2 shown]
	v_add_f64 v[32:33], v[67:68], -v[77:78]
	v_add_co_u32 v67, s4, v26, v75
	v_add_co_u32 v69, s5, v26, v79
	v_add_co_ci_u32_e64 v68, vcc_lo, v27, v76, s4
	v_add_co_ci_u32_e64 v70, vcc_lo, v27, v80, s5
	global_store_dwordx4 v[24:25], v[28:31], off
	global_store_dwordx4 v[50:51], v[60:63], off
	;; [unrolled: 1-line block ×7, first 2 shown]
	s_and_b32 exec_lo, exec_lo, s0
	s_cbranch_execz .LBB0_18
; %bb.17:
	v_mov_b32_e32 v28, 6
	v_mul_u32_u24_sdwa v28, v64, v28 dst_sel:DWORD dst_unused:UNUSED_PAD src0_sel:BYTE_0 src1_sel:DWORD
	v_lshlrev_b32_e32 v28, 4, v28
	v_add_co_u32 v30, s0, s8, v28
	v_add_co_ci_u32_e64 v31, null, s9, 0, s0
	v_add_co_u32 v50, vcc_lo, 0xfc0, v30
	v_add_co_ci_u32_e32 v51, vcc_lo, 0, v31, vcc_lo
	v_add_co_u32 v28, vcc_lo, 0x800, v30
	v_add_co_ci_u32_e32 v29, vcc_lo, 0, v31, vcc_lo
	;; [unrolled: 2-line block ×3, first 2 shown]
	s_clause 0x5
	global_load_dwordx4 v[28:31], v[28:29], off offset:1984
	global_load_dwordx4 v[32:35], v[50:51], off offset:16
	;; [unrolled: 1-line block ×3, first 2 shown]
	global_load_dwordx4 v[40:43], v[40:41], off
	global_load_dwordx4 v[44:47], v[50:51], off offset:32
	global_load_dwordx4 v[56:59], v[50:51], off offset:48
	v_add_co_u32 v24, vcc_lo, 0x800, v24
	v_add_co_ci_u32_e32 v25, vcc_lo, 0, v25, vcc_lo
	s_waitcnt vmcnt(5)
	v_mul_f64 v[50:51], v[20:21], v[30:31]
	v_mul_f64 v[30:31], v[8:9], v[30:31]
	s_waitcnt vmcnt(4)
	v_mul_f64 v[60:61], v[22:23], v[34:35]
	v_mul_f64 v[34:35], v[10:11], v[34:35]
	;; [unrolled: 3-line block ×6, first 2 shown]
	v_fma_f64 v[8:9], v[8:9], v[28:29], v[50:51]
	v_fma_f64 v[20:21], v[20:21], v[28:29], -v[30:31]
	v_fma_f64 v[10:11], v[10:11], v[32:33], v[60:61]
	v_fma_f64 v[22:23], v[22:23], v[32:33], -v[34:35]
	;; [unrolled: 2-line block ×6, first 2 shown]
	v_add_f64 v[28:29], v[8:9], v[6:7]
	v_add_f64 v[30:31], v[20:21], v[18:19]
	;; [unrolled: 1-line block ×4, first 2 shown]
	v_add_f64 v[4:5], v[10:11], -v[4:5]
	v_add_f64 v[10:11], v[22:23], -v[16:17]
	v_add_f64 v[36:37], v[0:1], v[2:3]
	v_add_f64 v[38:39], v[12:13], v[14:15]
	v_add_f64 v[0:1], v[2:3], -v[0:1]
	v_add_f64 v[2:3], v[14:15], -v[12:13]
	v_add_f64 v[6:7], v[8:9], -v[6:7]
	v_add_f64 v[8:9], v[20:21], -v[18:19]
	v_add_f64 v[12:13], v[32:33], v[28:29]
	v_add_f64 v[14:15], v[34:35], v[30:31]
	v_add_f64 v[16:17], v[28:29], -v[36:37]
	v_add_f64 v[18:19], v[30:31], -v[38:39]
	;; [unrolled: 1-line block ×10, first 2 shown]
	v_add_f64 v[4:5], v[0:1], v[4:5]
	v_add_f64 v[10:11], v[2:3], v[10:11]
	v_add_f64 v[32:33], v[6:7], -v[0:1]
	v_add_f64 v[12:13], v[36:37], v[12:13]
	v_add_f64 v[14:15], v[38:39], v[14:15]
	v_add_f64 v[38:39], v[8:9], -v[2:3]
	v_mul_f64 v[16:17], v[16:17], s[22:23]
	v_mul_f64 v[18:19], v[18:19], s[22:23]
	;; [unrolled: 1-line block ×8, first 2 shown]
	v_add_f64 v[4:5], v[4:5], v[6:7]
	v_add_f64 v[6:7], v[10:11], v[8:9]
	;; [unrolled: 1-line block ×4, first 2 shown]
	v_fma_f64 v[8:9], v[20:21], s[14:15], v[16:17]
	v_fma_f64 v[10:11], v[22:23], s[14:15], v[18:19]
	v_fma_f64 v[20:21], v[28:29], s[26:27], -v[34:35]
	v_fma_f64 v[22:23], v[30:31], s[26:27], -v[36:37]
	;; [unrolled: 1-line block ×3, first 2 shown]
	v_fma_f64 v[28:29], v[32:33], s[10:11], v[40:41]
	v_fma_f64 v[34:35], v[38:39], s[10:11], v[42:43]
	v_fma_f64 v[36:37], v[44:45], s[18:19], -v[40:41]
	v_fma_f64 v[40:41], v[46:47], s[18:19], -v[42:43]
	;; [unrolled: 1-line block ×5, first 2 shown]
	v_or_b32_e32 v30, 0x1e0, v48
	v_mov_b32_e32 v31, v49
	v_or_b32_e32 v42, 0x2e0, v48
	v_mov_b32_e32 v43, v49
	;; [unrolled: 2-line block ×3, first 2 shown]
	v_fma_f64 v[12:13], v[12:13], s[12:13], v[0:1]
	v_fma_f64 v[14:15], v[14:15], s[12:13], v[2:3]
	v_or_b32_e32 v46, 0x4e0, v48
	v_mov_b32_e32 v47, v49
	v_or_b32_e32 v50, 0x5e0, v48
	v_mov_b32_e32 v51, v49
	v_or_b32_e32 v48, 0x6e0, v48
	v_fma_f64 v[52:53], v[4:5], s[6:7], v[28:29]
	v_fma_f64 v[28:29], v[6:7], s[6:7], v[34:35]
	v_fma_f64 v[34:35], v[4:5], s[6:7], v[36:37]
	v_fma_f64 v[36:37], v[6:7], s[6:7], v[40:41]
	v_fma_f64 v[32:33], v[4:5], s[6:7], v[32:33]
	v_fma_f64 v[38:39], v[6:7], s[6:7], v[38:39]
	v_lshlrev_b64 v[4:5], 4, v[30:31]
	v_lshlrev_b64 v[6:7], 4, v[42:43]
	;; [unrolled: 1-line block ×6, first 2 shown]
	v_add_co_u32 v50, vcc_lo, v26, v4
	v_add_f64 v[40:41], v[8:9], v[12:13]
	v_add_f64 v[54:55], v[10:11], v[14:15]
	;; [unrolled: 1-line block ×6, first 2 shown]
	v_add_co_ci_u32_e32 v51, vcc_lo, v27, v5, vcc_lo
	v_add_co_u32 v60, vcc_lo, v26, v6
	v_add_co_ci_u32_e32 v61, vcc_lo, v27, v7, vcc_lo
	v_add_f64 v[4:5], v[28:29], v[40:41]
	v_add_f64 v[6:7], v[54:55], -v[52:53]
	v_add_f64 v[8:9], v[38:39], v[56:57]
	v_add_f64 v[10:11], v[58:59], -v[32:33]
	v_add_f64 v[12:13], v[16:17], -v[36:37]
	v_add_f64 v[14:15], v[34:35], v[18:19]
	v_add_f64 v[16:17], v[36:37], v[16:17]
	v_add_f64 v[18:19], v[18:19], -v[34:35]
	v_add_f64 v[20:21], v[56:57], -v[38:39]
	v_add_f64 v[22:23], v[32:33], v[58:59]
	v_add_f64 v[28:29], v[40:41], -v[28:29]
	v_add_f64 v[30:31], v[52:53], v[54:55]
	v_add_co_u32 v32, vcc_lo, v26, v42
	v_add_co_ci_u32_e32 v33, vcc_lo, v27, v43, vcc_lo
	v_add_co_u32 v34, vcc_lo, v26, v44
	v_add_co_ci_u32_e32 v35, vcc_lo, v27, v45, vcc_lo
	v_add_co_u32 v36, vcc_lo, v26, v46
	v_add_co_ci_u32_e32 v37, vcc_lo, v27, v47, vcc_lo
	v_add_co_u32 v26, vcc_lo, v26, v48
	v_add_co_ci_u32_e32 v27, vcc_lo, v27, v49, vcc_lo
	global_store_dwordx4 v[24:25], v[0:3], off offset:1536
	global_store_dwordx4 v[50:51], v[4:7], off
	global_store_dwordx4 v[60:61], v[8:11], off
	;; [unrolled: 1-line block ×6, first 2 shown]
.LBB0_18:
	s_endpgm
	.section	.rodata,"a",@progbits
	.p2align	6, 0x0
	.amdhsa_kernel fft_rtc_back_len1792_factors_4_4_4_4_7_wgs_224_tpt_224_halfLds_dp_ip_CI_unitstride_sbrr_dirReg
		.amdhsa_group_segment_fixed_size 0
		.amdhsa_private_segment_fixed_size 0
		.amdhsa_kernarg_size 88
		.amdhsa_user_sgpr_count 6
		.amdhsa_user_sgpr_private_segment_buffer 1
		.amdhsa_user_sgpr_dispatch_ptr 0
		.amdhsa_user_sgpr_queue_ptr 0
		.amdhsa_user_sgpr_kernarg_segment_ptr 1
		.amdhsa_user_sgpr_dispatch_id 0
		.amdhsa_user_sgpr_flat_scratch_init 0
		.amdhsa_user_sgpr_private_segment_size 0
		.amdhsa_wavefront_size32 1
		.amdhsa_uses_dynamic_stack 0
		.amdhsa_system_sgpr_private_segment_wavefront_offset 0
		.amdhsa_system_sgpr_workgroup_id_x 1
		.amdhsa_system_sgpr_workgroup_id_y 0
		.amdhsa_system_sgpr_workgroup_id_z 0
		.amdhsa_system_sgpr_workgroup_info 0
		.amdhsa_system_vgpr_workitem_id 0
		.amdhsa_next_free_vgpr 97
		.amdhsa_next_free_sgpr 28
		.amdhsa_reserve_vcc 1
		.amdhsa_reserve_flat_scratch 0
		.amdhsa_float_round_mode_32 0
		.amdhsa_float_round_mode_16_64 0
		.amdhsa_float_denorm_mode_32 3
		.amdhsa_float_denorm_mode_16_64 3
		.amdhsa_dx10_clamp 1
		.amdhsa_ieee_mode 1
		.amdhsa_fp16_overflow 0
		.amdhsa_workgroup_processor_mode 1
		.amdhsa_memory_ordered 1
		.amdhsa_forward_progress 0
		.amdhsa_shared_vgpr_count 0
		.amdhsa_exception_fp_ieee_invalid_op 0
		.amdhsa_exception_fp_denorm_src 0
		.amdhsa_exception_fp_ieee_div_zero 0
		.amdhsa_exception_fp_ieee_overflow 0
		.amdhsa_exception_fp_ieee_underflow 0
		.amdhsa_exception_fp_ieee_inexact 0
		.amdhsa_exception_int_div_zero 0
	.end_amdhsa_kernel
	.text
.Lfunc_end0:
	.size	fft_rtc_back_len1792_factors_4_4_4_4_7_wgs_224_tpt_224_halfLds_dp_ip_CI_unitstride_sbrr_dirReg, .Lfunc_end0-fft_rtc_back_len1792_factors_4_4_4_4_7_wgs_224_tpt_224_halfLds_dp_ip_CI_unitstride_sbrr_dirReg
                                        ; -- End function
	.section	.AMDGPU.csdata,"",@progbits
; Kernel info:
; codeLenInByte = 7032
; NumSgprs: 30
; NumVgprs: 97
; ScratchSize: 0
; MemoryBound: 1
; FloatMode: 240
; IeeeMode: 1
; LDSByteSize: 0 bytes/workgroup (compile time only)
; SGPRBlocks: 3
; VGPRBlocks: 12
; NumSGPRsForWavesPerEU: 30
; NumVGPRsForWavesPerEU: 97
; Occupancy: 9
; WaveLimiterHint : 1
; COMPUTE_PGM_RSRC2:SCRATCH_EN: 0
; COMPUTE_PGM_RSRC2:USER_SGPR: 6
; COMPUTE_PGM_RSRC2:TRAP_HANDLER: 0
; COMPUTE_PGM_RSRC2:TGID_X_EN: 1
; COMPUTE_PGM_RSRC2:TGID_Y_EN: 0
; COMPUTE_PGM_RSRC2:TGID_Z_EN: 0
; COMPUTE_PGM_RSRC2:TIDIG_COMP_CNT: 0
	.text
	.p2alignl 6, 3214868480
	.fill 48, 4, 3214868480
	.type	__hip_cuid_a0839f6e28ee5133,@object ; @__hip_cuid_a0839f6e28ee5133
	.section	.bss,"aw",@nobits
	.globl	__hip_cuid_a0839f6e28ee5133
__hip_cuid_a0839f6e28ee5133:
	.byte	0                               ; 0x0
	.size	__hip_cuid_a0839f6e28ee5133, 1

	.ident	"AMD clang version 19.0.0git (https://github.com/RadeonOpenCompute/llvm-project roc-6.4.0 25133 c7fe45cf4b819c5991fe208aaa96edf142730f1d)"
	.section	".note.GNU-stack","",@progbits
	.addrsig
	.addrsig_sym __hip_cuid_a0839f6e28ee5133
	.amdgpu_metadata
---
amdhsa.kernels:
  - .args:
      - .actual_access:  read_only
        .address_space:  global
        .offset:         0
        .size:           8
        .value_kind:     global_buffer
      - .offset:         8
        .size:           8
        .value_kind:     by_value
      - .actual_access:  read_only
        .address_space:  global
        .offset:         16
        .size:           8
        .value_kind:     global_buffer
      - .actual_access:  read_only
        .address_space:  global
        .offset:         24
        .size:           8
        .value_kind:     global_buffer
      - .offset:         32
        .size:           8
        .value_kind:     by_value
      - .actual_access:  read_only
        .address_space:  global
        .offset:         40
        .size:           8
        .value_kind:     global_buffer
      - .actual_access:  read_only
        .address_space:  global
        .offset:         48
        .size:           8
        .value_kind:     global_buffer
      - .offset:         56
        .size:           4
        .value_kind:     by_value
      - .actual_access:  read_only
        .address_space:  global
        .offset:         64
        .size:           8
        .value_kind:     global_buffer
      - .actual_access:  read_only
        .address_space:  global
        .offset:         72
        .size:           8
        .value_kind:     global_buffer
      - .address_space:  global
        .offset:         80
        .size:           8
        .value_kind:     global_buffer
    .group_segment_fixed_size: 0
    .kernarg_segment_align: 8
    .kernarg_segment_size: 88
    .language:       OpenCL C
    .language_version:
      - 2
      - 0
    .max_flat_workgroup_size: 224
    .name:           fft_rtc_back_len1792_factors_4_4_4_4_7_wgs_224_tpt_224_halfLds_dp_ip_CI_unitstride_sbrr_dirReg
    .private_segment_fixed_size: 0
    .sgpr_count:     30
    .sgpr_spill_count: 0
    .symbol:         fft_rtc_back_len1792_factors_4_4_4_4_7_wgs_224_tpt_224_halfLds_dp_ip_CI_unitstride_sbrr_dirReg.kd
    .uniform_work_group_size: 1
    .uses_dynamic_stack: false
    .vgpr_count:     97
    .vgpr_spill_count: 0
    .wavefront_size: 32
    .workgroup_processor_mode: 1
amdhsa.target:   amdgcn-amd-amdhsa--gfx1030
amdhsa.version:
  - 1
  - 2
...

	.end_amdgpu_metadata
